;; amdgpu-corpus repo=ROCm/rocFFT kind=compiled arch=gfx1030 opt=O3
	.text
	.amdgcn_target "amdgcn-amd-amdhsa--gfx1030"
	.amdhsa_code_object_version 6
	.protected	fft_rtc_back_len990_factors_2_3_3_5_11_wgs_110_tpt_110_dp_ip_CI_unitstride_sbrr_C2R_dirReg ; -- Begin function fft_rtc_back_len990_factors_2_3_3_5_11_wgs_110_tpt_110_dp_ip_CI_unitstride_sbrr_C2R_dirReg
	.globl	fft_rtc_back_len990_factors_2_3_3_5_11_wgs_110_tpt_110_dp_ip_CI_unitstride_sbrr_C2R_dirReg
	.p2align	8
	.type	fft_rtc_back_len990_factors_2_3_3_5_11_wgs_110_tpt_110_dp_ip_CI_unitstride_sbrr_C2R_dirReg,@function
fft_rtc_back_len990_factors_2_3_3_5_11_wgs_110_tpt_110_dp_ip_CI_unitstride_sbrr_C2R_dirReg: ; @fft_rtc_back_len990_factors_2_3_3_5_11_wgs_110_tpt_110_dp_ip_CI_unitstride_sbrr_C2R_dirReg
; %bb.0:
	s_clause 0x2
	s_load_dwordx4 s[8:11], s[4:5], 0x0
	s_load_dwordx2 s[2:3], s[4:5], 0x50
	s_load_dwordx2 s[12:13], s[4:5], 0x18
	v_mul_u32_u24_e32 v1, 0x254, v0
	v_mov_b32_e32 v3, 0
	v_add_nc_u32_sdwa v5, s6, v1 dst_sel:DWORD dst_unused:UNUSED_PAD src0_sel:DWORD src1_sel:WORD_1
	v_mov_b32_e32 v1, 0
	v_mov_b32_e32 v6, v3
	v_mov_b32_e32 v2, 0
	s_waitcnt lgkmcnt(0)
	v_cmp_lt_u64_e64 s0, s[10:11], 2
	s_and_b32 vcc_lo, exec_lo, s0
	s_cbranch_vccnz .LBB0_8
; %bb.1:
	s_load_dwordx2 s[0:1], s[4:5], 0x10
	v_mov_b32_e32 v1, 0
	s_add_u32 s6, s12, 8
	v_mov_b32_e32 v2, 0
	s_addc_u32 s7, s13, 0
	s_mov_b64 s[16:17], 1
	s_waitcnt lgkmcnt(0)
	s_add_u32 s14, s0, 8
	s_addc_u32 s15, s1, 0
.LBB0_2:                                ; =>This Inner Loop Header: Depth=1
	s_load_dwordx2 s[18:19], s[14:15], 0x0
                                        ; implicit-def: $vgpr7_vgpr8
	s_mov_b32 s0, exec_lo
	s_waitcnt lgkmcnt(0)
	v_or_b32_e32 v4, s19, v6
	v_cmpx_ne_u64_e32 0, v[3:4]
	s_xor_b32 s1, exec_lo, s0
	s_cbranch_execz .LBB0_4
; %bb.3:                                ;   in Loop: Header=BB0_2 Depth=1
	v_cvt_f32_u32_e32 v4, s18
	v_cvt_f32_u32_e32 v7, s19
	s_sub_u32 s0, 0, s18
	s_subb_u32 s20, 0, s19
	v_fmac_f32_e32 v4, 0x4f800000, v7
	v_rcp_f32_e32 v4, v4
	v_mul_f32_e32 v4, 0x5f7ffffc, v4
	v_mul_f32_e32 v7, 0x2f800000, v4
	v_trunc_f32_e32 v7, v7
	v_fmac_f32_e32 v4, 0xcf800000, v7
	v_cvt_u32_f32_e32 v7, v7
	v_cvt_u32_f32_e32 v4, v4
	v_mul_lo_u32 v8, s0, v7
	v_mul_hi_u32 v9, s0, v4
	v_mul_lo_u32 v10, s20, v4
	v_add_nc_u32_e32 v8, v9, v8
	v_mul_lo_u32 v9, s0, v4
	v_add_nc_u32_e32 v8, v8, v10
	v_mul_hi_u32 v10, v4, v9
	v_mul_lo_u32 v11, v4, v8
	v_mul_hi_u32 v12, v4, v8
	v_mul_hi_u32 v13, v7, v9
	v_mul_lo_u32 v9, v7, v9
	v_mul_hi_u32 v14, v7, v8
	v_mul_lo_u32 v8, v7, v8
	v_add_co_u32 v10, vcc_lo, v10, v11
	v_add_co_ci_u32_e32 v11, vcc_lo, 0, v12, vcc_lo
	v_add_co_u32 v9, vcc_lo, v10, v9
	v_add_co_ci_u32_e32 v9, vcc_lo, v11, v13, vcc_lo
	v_add_co_ci_u32_e32 v10, vcc_lo, 0, v14, vcc_lo
	v_add_co_u32 v8, vcc_lo, v9, v8
	v_add_co_ci_u32_e32 v9, vcc_lo, 0, v10, vcc_lo
	v_add_co_u32 v4, vcc_lo, v4, v8
	v_add_co_ci_u32_e32 v7, vcc_lo, v7, v9, vcc_lo
	v_mul_hi_u32 v8, s0, v4
	v_mul_lo_u32 v10, s20, v4
	v_mul_lo_u32 v9, s0, v7
	v_add_nc_u32_e32 v8, v8, v9
	v_mul_lo_u32 v9, s0, v4
	v_add_nc_u32_e32 v8, v8, v10
	v_mul_hi_u32 v10, v4, v9
	v_mul_lo_u32 v11, v4, v8
	v_mul_hi_u32 v12, v4, v8
	v_mul_hi_u32 v13, v7, v9
	v_mul_lo_u32 v9, v7, v9
	v_mul_hi_u32 v14, v7, v8
	v_mul_lo_u32 v8, v7, v8
	v_add_co_u32 v10, vcc_lo, v10, v11
	v_add_co_ci_u32_e32 v11, vcc_lo, 0, v12, vcc_lo
	v_add_co_u32 v9, vcc_lo, v10, v9
	v_add_co_ci_u32_e32 v9, vcc_lo, v11, v13, vcc_lo
	v_add_co_ci_u32_e32 v10, vcc_lo, 0, v14, vcc_lo
	v_add_co_u32 v8, vcc_lo, v9, v8
	v_add_co_ci_u32_e32 v9, vcc_lo, 0, v10, vcc_lo
	v_add_co_u32 v4, vcc_lo, v4, v8
	v_add_co_ci_u32_e32 v11, vcc_lo, v7, v9, vcc_lo
	v_mul_hi_u32 v13, v5, v4
	v_mad_u64_u32 v[9:10], null, v6, v4, 0
	v_mad_u64_u32 v[7:8], null, v5, v11, 0
	;; [unrolled: 1-line block ×3, first 2 shown]
	v_add_co_u32 v4, vcc_lo, v13, v7
	v_add_co_ci_u32_e32 v7, vcc_lo, 0, v8, vcc_lo
	v_add_co_u32 v4, vcc_lo, v4, v9
	v_add_co_ci_u32_e32 v4, vcc_lo, v7, v10, vcc_lo
	v_add_co_ci_u32_e32 v7, vcc_lo, 0, v12, vcc_lo
	v_add_co_u32 v4, vcc_lo, v4, v11
	v_add_co_ci_u32_e32 v9, vcc_lo, 0, v7, vcc_lo
	v_mul_lo_u32 v10, s19, v4
	v_mad_u64_u32 v[7:8], null, s18, v4, 0
	v_mul_lo_u32 v11, s18, v9
	v_sub_co_u32 v7, vcc_lo, v5, v7
	v_add3_u32 v8, v8, v11, v10
	v_sub_nc_u32_e32 v10, v6, v8
	v_subrev_co_ci_u32_e64 v10, s0, s19, v10, vcc_lo
	v_add_co_u32 v11, s0, v4, 2
	v_add_co_ci_u32_e64 v12, s0, 0, v9, s0
	v_sub_co_u32 v13, s0, v7, s18
	v_sub_co_ci_u32_e32 v8, vcc_lo, v6, v8, vcc_lo
	v_subrev_co_ci_u32_e64 v10, s0, 0, v10, s0
	v_cmp_le_u32_e32 vcc_lo, s18, v13
	v_cmp_eq_u32_e64 s0, s19, v8
	v_cndmask_b32_e64 v13, 0, -1, vcc_lo
	v_cmp_le_u32_e32 vcc_lo, s19, v10
	v_cndmask_b32_e64 v14, 0, -1, vcc_lo
	v_cmp_le_u32_e32 vcc_lo, s18, v7
	;; [unrolled: 2-line block ×3, first 2 shown]
	v_cndmask_b32_e64 v15, 0, -1, vcc_lo
	v_cmp_eq_u32_e32 vcc_lo, s19, v10
	v_cndmask_b32_e64 v7, v15, v7, s0
	v_cndmask_b32_e32 v10, v14, v13, vcc_lo
	v_add_co_u32 v13, vcc_lo, v4, 1
	v_add_co_ci_u32_e32 v14, vcc_lo, 0, v9, vcc_lo
	v_cmp_ne_u32_e32 vcc_lo, 0, v10
	v_cndmask_b32_e32 v8, v14, v12, vcc_lo
	v_cndmask_b32_e32 v10, v13, v11, vcc_lo
	v_cmp_ne_u32_e32 vcc_lo, 0, v7
	v_cndmask_b32_e32 v8, v9, v8, vcc_lo
	v_cndmask_b32_e32 v7, v4, v10, vcc_lo
.LBB0_4:                                ;   in Loop: Header=BB0_2 Depth=1
	s_andn2_saveexec_b32 s0, s1
	s_cbranch_execz .LBB0_6
; %bb.5:                                ;   in Loop: Header=BB0_2 Depth=1
	v_cvt_f32_u32_e32 v4, s18
	s_sub_i32 s1, 0, s18
	v_rcp_iflag_f32_e32 v4, v4
	v_mul_f32_e32 v4, 0x4f7ffffe, v4
	v_cvt_u32_f32_e32 v4, v4
	v_mul_lo_u32 v7, s1, v4
	v_mul_hi_u32 v7, v4, v7
	v_add_nc_u32_e32 v4, v4, v7
	v_mul_hi_u32 v4, v5, v4
	v_mul_lo_u32 v7, v4, s18
	v_add_nc_u32_e32 v8, 1, v4
	v_sub_nc_u32_e32 v7, v5, v7
	v_subrev_nc_u32_e32 v9, s18, v7
	v_cmp_le_u32_e32 vcc_lo, s18, v7
	v_cndmask_b32_e32 v7, v7, v9, vcc_lo
	v_cndmask_b32_e32 v4, v4, v8, vcc_lo
	v_cmp_le_u32_e32 vcc_lo, s18, v7
	v_add_nc_u32_e32 v8, 1, v4
	v_cndmask_b32_e32 v7, v4, v8, vcc_lo
	v_mov_b32_e32 v8, v3
.LBB0_6:                                ;   in Loop: Header=BB0_2 Depth=1
	s_or_b32 exec_lo, exec_lo, s0
	s_load_dwordx2 s[0:1], s[6:7], 0x0
	v_mul_lo_u32 v4, v8, s18
	v_mul_lo_u32 v11, v7, s19
	v_mad_u64_u32 v[9:10], null, v7, s18, 0
	s_add_u32 s16, s16, 1
	s_addc_u32 s17, s17, 0
	s_add_u32 s6, s6, 8
	s_addc_u32 s7, s7, 0
	;; [unrolled: 2-line block ×3, first 2 shown]
	v_add3_u32 v4, v10, v11, v4
	v_sub_co_u32 v5, vcc_lo, v5, v9
	v_sub_co_ci_u32_e32 v4, vcc_lo, v6, v4, vcc_lo
	s_waitcnt lgkmcnt(0)
	v_mul_lo_u32 v6, s1, v5
	v_mul_lo_u32 v4, s0, v4
	v_mad_u64_u32 v[1:2], null, s0, v5, v[1:2]
	v_cmp_ge_u64_e64 s0, s[16:17], s[10:11]
	s_and_b32 vcc_lo, exec_lo, s0
	v_add3_u32 v2, v6, v2, v4
	s_cbranch_vccnz .LBB0_9
; %bb.7:                                ;   in Loop: Header=BB0_2 Depth=1
	v_mov_b32_e32 v5, v7
	v_mov_b32_e32 v6, v8
	s_branch .LBB0_2
.LBB0_8:
	v_mov_b32_e32 v8, v6
	v_mov_b32_e32 v7, v5
.LBB0_9:
	s_lshl_b64 s[0:1], s[10:11], 3
	v_mul_hi_u32 v5, 0x253c826, v0
	s_add_u32 s0, s12, s0
	s_addc_u32 s1, s13, s1
	s_load_dwordx2 s[0:1], s[0:1], 0x0
	s_load_dwordx2 s[4:5], s[4:5], 0x20
	s_waitcnt lgkmcnt(0)
	v_mul_lo_u32 v3, s0, v8
	v_mul_lo_u32 v4, s1, v7
	v_mad_u64_u32 v[1:2], null, s0, v7, v[1:2]
	v_cmp_gt_u64_e32 vcc_lo, s[4:5], v[7:8]
	v_add3_u32 v2, v4, v2, v3
	v_mul_u32_u24_e32 v3, 0x6e, v5
	v_lshlrev_b64 v[58:59], 4, v[1:2]
	v_sub_nc_u32_e32 v56, v0, v3
	s_and_saveexec_b32 s1, vcc_lo
	s_cbranch_execz .LBB0_13
; %bb.10:
	v_mov_b32_e32 v57, 0
	v_add_co_u32 v0, s0, s2, v58
	v_add_co_ci_u32_e64 v1, s0, s3, v59, s0
	v_lshlrev_b64 v[2:3], 4, v[56:57]
	v_lshl_add_u32 v38, v56, 4, 0
	s_mov_b32 s4, exec_lo
	v_add_co_u32 v10, s0, v0, v2
	v_add_co_ci_u32_e64 v11, s0, v1, v3, s0
	s_clause 0x1
	global_load_dwordx4 v[2:5], v[10:11], off
	global_load_dwordx4 v[6:9], v[10:11], off offset:1760
	v_add_co_u32 v12, s0, 0x800, v10
	v_add_co_ci_u32_e64 v13, s0, 0, v11, s0
	v_add_co_u32 v14, s0, 0x1000, v10
	v_add_co_ci_u32_e64 v15, s0, 0, v11, s0
	;; [unrolled: 2-line block ×6, first 2 shown]
	s_clause 0x6
	global_load_dwordx4 v[10:13], v[12:13], off offset:1472
	global_load_dwordx4 v[14:17], v[14:15], off offset:1184
	;; [unrolled: 1-line block ×7, first 2 shown]
	s_waitcnt vmcnt(8)
	ds_write_b128 v38, v[2:5]
	s_waitcnt vmcnt(7)
	ds_write_b128 v38, v[6:9] offset:1760
	s_waitcnt vmcnt(6)
	ds_write_b128 v38, v[10:13] offset:3520
	;; [unrolled: 2-line block ×8, first 2 shown]
	v_cmpx_eq_u32_e32 0x6d, v56
	s_cbranch_execz .LBB0_12
; %bb.11:
	v_add_co_u32 v0, s0, 0x3800, v0
	v_add_co_ci_u32_e64 v1, s0, 0, v1, s0
	v_mov_b32_e32 v56, 0x6d
	global_load_dwordx4 v[0:3], v[0:1], off offset:1504
	s_waitcnt vmcnt(0)
	ds_write_b128 v57, v[0:3] offset:15840
.LBB0_12:
	s_or_b32 exec_lo, exec_lo, s4
.LBB0_13:
	s_or_b32 exec_lo, exec_lo, s1
	v_lshlrev_b32_e32 v10, 4, v56
	s_waitcnt lgkmcnt(0)
	s_barrier
	buffer_gl0_inv
	s_add_u32 s1, s8, 0x3dc0
	v_add_nc_u32_e32 v62, 0, v10
	v_sub_nc_u32_e32 v11, 0, v10
	s_addc_u32 s4, s9, 0
	s_mov_b32 s5, exec_lo
                                        ; implicit-def: $vgpr4_vgpr5
	ds_read_b64 v[6:7], v62
	ds_read_b64 v[8:9], v11 offset:15840
	s_waitcnt lgkmcnt(0)
	v_add_f64 v[0:1], v[6:7], v[8:9]
	v_add_f64 v[2:3], v[6:7], -v[8:9]
	v_cmpx_ne_u32_e32 0, v56
	s_xor_b32 s5, exec_lo, s5
	s_cbranch_execz .LBB0_15
; %bb.14:
	v_mov_b32_e32 v57, 0
	v_add_f64 v[14:15], v[6:7], v[8:9]
	v_add_f64 v[16:17], v[6:7], -v[8:9]
	v_lshlrev_b64 v[0:1], 4, v[56:57]
	v_add_co_u32 v0, s0, s1, v0
	v_add_co_ci_u32_e64 v1, s0, s4, v1, s0
	global_load_dwordx4 v[2:5], v[0:1], off
	ds_read_b64 v[0:1], v11 offset:15848
	ds_read_b64 v[12:13], v62 offset:8
	s_waitcnt lgkmcnt(0)
	v_add_f64 v[6:7], v[0:1], v[12:13]
	v_add_f64 v[0:1], v[12:13], -v[0:1]
	s_waitcnt vmcnt(0)
	v_fma_f64 v[8:9], v[16:17], v[4:5], v[14:15]
	v_fma_f64 v[12:13], -v[16:17], v[4:5], v[14:15]
	v_fma_f64 v[14:15], v[6:7], v[4:5], -v[0:1]
	v_fma_f64 v[4:5], v[6:7], v[4:5], v[0:1]
	v_fma_f64 v[0:1], -v[6:7], v[2:3], v[8:9]
	v_fma_f64 v[6:7], v[6:7], v[2:3], v[12:13]
	v_fma_f64 v[8:9], v[16:17], v[2:3], v[14:15]
	;; [unrolled: 1-line block ×3, first 2 shown]
	v_mov_b32_e32 v4, v56
	v_mov_b32_e32 v5, v57
	ds_write_b128 v11, v[6:9] offset:15840
.LBB0_15:
	s_andn2_saveexec_b32 s0, s5
	s_cbranch_execz .LBB0_17
; %bb.16:
	v_mov_b32_e32 v8, 0
	ds_read_b128 v[4:7], v8 offset:7920
	s_waitcnt lgkmcnt(0)
	v_add_f64 v[12:13], v[4:5], v[4:5]
	v_mul_f64 v[14:15], v[6:7], -2.0
	v_mov_b32_e32 v4, 0
	v_mov_b32_e32 v5, 0
	ds_write_b128 v8, v[12:15] offset:7920
.LBB0_17:
	s_or_b32 exec_lo, exec_lo, s0
	v_lshlrev_b64 v[4:5], 4, v[4:5]
	ds_write_b128 v62, v[0:3]
	v_add_co_u32 v4, s0, s1, v4
	v_add_co_ci_u32_e64 v5, s0, s4, v5, s0
	v_add_co_u32 v12, s0, 0x800, v4
	global_load_dwordx4 v[6:9], v[4:5], off offset:1760
	v_add_co_ci_u32_e64 v13, s0, 0, v5, s0
	v_add_co_u32 v16, s0, 0x1000, v4
	v_add_co_ci_u32_e64 v17, s0, 0, v5, s0
	global_load_dwordx4 v[12:15], v[12:13], off offset:1472
	v_cmp_gt_u32_e64 s0, 55, v56
	global_load_dwordx4 v[16:19], v[16:17], off offset:1184
	ds_read_b128 v[0:3], v62 offset:1760
	ds_read_b128 v[20:23], v11 offset:14080
	s_waitcnt lgkmcnt(0)
	v_add_f64 v[24:25], v[0:1], v[20:21]
	v_add_f64 v[26:27], v[22:23], v[2:3]
	v_add_f64 v[28:29], v[0:1], -v[20:21]
	v_add_f64 v[0:1], v[2:3], -v[22:23]
	s_waitcnt vmcnt(2)
	v_fma_f64 v[2:3], v[28:29], v[8:9], v[24:25]
	v_fma_f64 v[20:21], v[26:27], v[8:9], v[0:1]
	v_fma_f64 v[22:23], -v[28:29], v[8:9], v[24:25]
	v_fma_f64 v[8:9], v[26:27], v[8:9], -v[0:1]
	v_fma_f64 v[0:1], -v[26:27], v[6:7], v[2:3]
	v_fma_f64 v[2:3], v[28:29], v[6:7], v[20:21]
	v_fma_f64 v[20:21], v[26:27], v[6:7], v[22:23]
	v_fma_f64 v[22:23], v[28:29], v[6:7], v[8:9]
	ds_write_b128 v62, v[0:3] offset:1760
	ds_write_b128 v11, v[20:23] offset:14080
	ds_read_b128 v[0:3], v62 offset:3520
	ds_read_b128 v[6:9], v11 offset:12320
	s_waitcnt lgkmcnt(0)
	v_add_f64 v[20:21], v[0:1], v[6:7]
	v_add_f64 v[22:23], v[8:9], v[2:3]
	v_add_f64 v[24:25], v[0:1], -v[6:7]
	v_add_f64 v[0:1], v[2:3], -v[8:9]
	s_waitcnt vmcnt(1)
	v_fma_f64 v[2:3], v[24:25], v[14:15], v[20:21]
	v_fma_f64 v[6:7], v[22:23], v[14:15], v[0:1]
	v_fma_f64 v[8:9], -v[24:25], v[14:15], v[20:21]
	v_fma_f64 v[14:15], v[22:23], v[14:15], -v[0:1]
	v_fma_f64 v[0:1], -v[22:23], v[12:13], v[2:3]
	v_fma_f64 v[2:3], v[24:25], v[12:13], v[6:7]
	v_fma_f64 v[6:7], v[22:23], v[12:13], v[8:9]
	v_fma_f64 v[8:9], v[24:25], v[12:13], v[14:15]
	ds_write_b128 v62, v[0:3] offset:3520
	ds_write_b128 v11, v[6:9] offset:12320
	ds_read_b128 v[0:3], v62 offset:5280
	ds_read_b128 v[6:9], v11 offset:10560
	s_waitcnt lgkmcnt(0)
	v_add_f64 v[12:13], v[0:1], v[6:7]
	v_add_f64 v[14:15], v[8:9], v[2:3]
	v_add_f64 v[20:21], v[0:1], -v[6:7]
	v_add_f64 v[0:1], v[2:3], -v[8:9]
	s_waitcnt vmcnt(0)
	v_fma_f64 v[2:3], v[20:21], v[18:19], v[12:13]
	v_fma_f64 v[6:7], v[14:15], v[18:19], v[0:1]
	v_fma_f64 v[8:9], -v[20:21], v[18:19], v[12:13]
	v_fma_f64 v[12:13], v[14:15], v[18:19], -v[0:1]
	v_fma_f64 v[0:1], -v[14:15], v[16:17], v[2:3]
	v_fma_f64 v[2:3], v[20:21], v[16:17], v[6:7]
	v_fma_f64 v[6:7], v[14:15], v[16:17], v[8:9]
	v_fma_f64 v[8:9], v[20:21], v[16:17], v[12:13]
	ds_write_b128 v62, v[0:3] offset:5280
	ds_write_b128 v11, v[6:9] offset:10560
	s_and_saveexec_b32 s4, s0
	s_cbranch_execz .LBB0_19
; %bb.18:
	v_add_co_u32 v0, s1, 0x1800, v4
	v_add_co_ci_u32_e64 v1, s1, 0, v5, s1
	global_load_dwordx4 v[0:3], v[0:1], off offset:896
	ds_read_b128 v[4:7], v62 offset:7040
	ds_read_b128 v[12:15], v11 offset:8800
	s_waitcnt lgkmcnt(0)
	v_add_f64 v[8:9], v[4:5], v[12:13]
	v_add_f64 v[16:17], v[14:15], v[6:7]
	v_add_f64 v[12:13], v[4:5], -v[12:13]
	v_add_f64 v[4:5], v[6:7], -v[14:15]
	s_waitcnt vmcnt(0)
	v_fma_f64 v[6:7], v[12:13], v[2:3], v[8:9]
	v_fma_f64 v[14:15], v[16:17], v[2:3], v[4:5]
	v_fma_f64 v[8:9], -v[12:13], v[2:3], v[8:9]
	v_fma_f64 v[18:19], v[16:17], v[2:3], -v[4:5]
	v_fma_f64 v[2:3], -v[16:17], v[0:1], v[6:7]
	v_fma_f64 v[4:5], v[12:13], v[0:1], v[14:15]
	v_fma_f64 v[6:7], v[16:17], v[0:1], v[8:9]
	;; [unrolled: 1-line block ×3, first 2 shown]
	ds_write_b128 v62, v[2:5] offset:7040
	ds_write_b128 v11, v[6:9] offset:8800
.LBB0_19:
	s_or_b32 exec_lo, exec_lo, s4
	s_waitcnt lgkmcnt(0)
	s_barrier
	buffer_gl0_inv
	s_barrier
	buffer_gl0_inv
	ds_read_b128 v[0:3], v62 offset:7920
	ds_read_b128 v[11:14], v62
	ds_read_b128 v[15:18], v62 offset:1760
	ds_read_b128 v[19:22], v62 offset:9680
	;; [unrolled: 1-line block ×8, first 2 shown]
	v_add_nc_u32_e32 v8, 0xdc, v56
	v_add_nc_u32_e32 v9, v62, v10
	s_waitcnt lgkmcnt(0)
	s_barrier
	buffer_gl0_inv
	v_add_f64 v[43:44], v[11:12], -v[0:1]
	v_add_f64 v[45:46], v[13:14], -v[2:3]
	;; [unrolled: 1-line block ×10, first 2 shown]
	v_add_nc_u32_e32 v40, 0x6e, v56
	v_lshl_add_u32 v39, v8, 5, 0
	v_lshl_add_u32 v41, v56, 5, 0
	;; [unrolled: 1-line block ×3, first 2 shown]
	v_fma_f64 v[11:12], v[11:12], 2.0, -v[43:44]
	v_fma_f64 v[13:14], v[13:14], 2.0, -v[45:46]
	v_fma_f64 v[15:16], v[15:16], 2.0, -v[19:20]
	v_fma_f64 v[17:18], v[17:18], 2.0, -v[21:22]
	v_fma_f64 v[27:28], v[27:28], 2.0, -v[23:24]
	v_fma_f64 v[29:30], v[29:30], 2.0, -v[25:26]
	v_fma_f64 v[31:32], v[31:32], 2.0, -v[35:36]
	v_fma_f64 v[33:34], v[33:34], 2.0, -v[37:38]
	ds_write_b128 v9, v[43:46] offset:16
	ds_write_b128 v10, v[19:22] offset:16
	;; [unrolled: 1-line block ×3, first 2 shown]
	ds_write_b128 v9, v[11:14]
	ds_write_b128 v10, v[15:18]
	;; [unrolled: 1-line block ×3, first 2 shown]
	ds_write_b128 v41, v[31:34] offset:10560
	ds_write_b128 v41, v[35:38] offset:10576
	s_and_saveexec_b32 s1, s0
	s_cbranch_execz .LBB0_21
; %bb.20:
	v_fma_f64 v[6:7], v[6:7], 2.0, -v[2:3]
	v_fma_f64 v[4:5], v[4:5], 2.0, -v[0:1]
	ds_write_b128 v9, v[4:7] offset:14080
	ds_write_b128 v9, v[0:3] offset:14096
.LBB0_21:
	s_or_b32 exec_lo, exec_lo, s1
	v_and_b32_e32 v39, 1, v56
	s_waitcnt lgkmcnt(0)
	s_barrier
	buffer_gl0_inv
	v_lshrrev_b32_e32 v57, 1, v8
	v_lshlrev_b32_e32 v9, 5, v39
	v_and_b32_e32 v43, 0xff, v40
	s_mov_b32 s0, 0xe8584caa
	s_mov_b32 s1, 0xbfebb67a
	;; [unrolled: 1-line block ×3, first 2 shown]
	s_clause 0x1
	global_load_dwordx4 v[4:7], v9, s[8:9]
	global_load_dwordx4 v[9:12], v9, s[8:9] offset:16
	ds_read_b128 v[13:16], v62 offset:5280
	ds_read_b128 v[17:20], v62 offset:10560
	;; [unrolled: 1-line block ×7, first 2 shown]
	s_mov_b32 s4, s0
	v_mul_u32_u24_e32 v57, 6, v57
	v_mul_lo_u16 v87, 0xab, v43
	v_mov_b32_e32 v85, 5
	s_waitcnt vmcnt(1) lgkmcnt(6)
	v_mul_f64 v[37:38], v[15:16], v[6:7]
	v_mul_f64 v[41:42], v[13:14], v[6:7]
	s_waitcnt vmcnt(0) lgkmcnt(5)
	v_mul_f64 v[48:49], v[19:20], v[11:12]
	v_mul_f64 v[50:51], v[17:18], v[11:12]
	s_waitcnt lgkmcnt(4)
	v_mul_f64 v[52:53], v[23:24], v[6:7]
	v_mul_f64 v[54:55], v[21:22], v[6:7]
	s_waitcnt lgkmcnt(3)
	;; [unrolled: 3-line block ×4, first 2 shown]
	v_mul_f64 v[67:68], v[35:36], v[11:12]
	v_mul_f64 v[11:12], v[33:34], v[11:12]
	v_fma_f64 v[13:14], v[13:14], v[4:5], v[37:38]
	v_fma_f64 v[15:16], v[15:16], v[4:5], -v[41:42]
	v_fma_f64 v[17:18], v[17:18], v[9:10], v[48:49]
	v_fma_f64 v[19:20], v[19:20], v[9:10], -v[50:51]
	;; [unrolled: 2-line block ×6, first 2 shown]
	v_lshrrev_b32_e32 v54, 1, v40
	ds_read_b128 v[4:7], v62
	ds_read_b128 v[9:12], v62 offset:1760
	v_and_b32_e32 v42, 0xff, v56
	v_mov_b32_e32 v63, 0xaaab
	v_lshrrev_b32_e32 v41, 1, v56
	v_mul_u32_u24_e32 v86, 6, v54
	s_waitcnt lgkmcnt(0)
	v_mul_lo_u16 v64, 0xab, v42
	v_mul_u32_u24_sdwa v88, v8, v63 dst_sel:DWORD dst_unused:UNUSED_PAD src0_sel:WORD_0 src1_sel:DWORD
	v_mul_u32_u24_e32 v41, 6, v41
	s_barrier
	buffer_gl0_inv
	v_add_f64 v[37:38], v[13:14], v[17:18]
	v_add_f64 v[48:49], v[15:16], v[19:20]
	v_lshrrev_b16 v89, 10, v64
	v_add_f64 v[75:76], v[15:16], -v[19:20]
	v_add_f64 v[50:51], v[21:22], v[25:26]
	v_add_f64 v[52:53], v[23:24], v[27:28]
	v_add_f64 v[77:78], v[13:14], -v[17:18]
	v_add_f64 v[79:80], v[23:24], -v[27:28]
	v_add_f64 v[54:55], v[29:30], v[33:34]
	v_add_f64 v[60:61], v[31:32], v[35:36]
	;; [unrolled: 1-line block ×6, first 2 shown]
	v_add_f64 v[81:82], v[21:22], -v[25:26]
	v_add_f64 v[71:72], v[44:45], v[29:30]
	v_add_f64 v[73:74], v[46:47], v[31:32]
	v_add_f64 v[83:84], v[31:32], -v[35:36]
	v_or_b32_e32 v41, v41, v39
	v_fma_f64 v[37:38], v[37:38], -0.5, v[4:5]
	v_fma_f64 v[48:49], v[48:49], -0.5, v[6:7]
	v_lshl_add_u32 v41, v41, 4, 0
	v_fma_f64 v[50:51], v[50:51], -0.5, v[9:10]
	v_fma_f64 v[52:53], v[52:53], -0.5, v[11:12]
	;; [unrolled: 1-line block ×3, first 2 shown]
	v_add_f64 v[54:55], v[29:30], -v[33:34]
	v_fma_f64 v[46:47], v[60:61], -0.5, v[46:47]
	v_add_f64 v[4:5], v[63:64], v[17:18]
	v_add_f64 v[6:7], v[65:66], v[19:20]
	;; [unrolled: 1-line block ×6, first 2 shown]
	v_or_b32_e32 v60, v86, v39
	v_or_b32_e32 v39, v57, v39
	v_lshrrev_b16 v57, 10, v87
	v_fma_f64 v[17:18], v[75:76], s[0:1], v[37:38]
	v_fma_f64 v[19:20], v[77:78], s[4:5], v[48:49]
	;; [unrolled: 1-line block ×9, first 2 shown]
	v_lshrrev_b32_e32 v79, 18, v88
	v_fma_f64 v[35:36], v[54:55], s[4:5], v[46:47]
	v_mul_lo_u16 v37, v89, 6
	v_fma_f64 v[44:45], v[83:84], s[4:5], v[44:45]
	v_fma_f64 v[46:47], v[54:55], s[0:1], v[46:47]
	v_mul_lo_u16 v38, v57, 6
	v_mul_lo_u16 v48, v79, 6
	v_sub_nc_u16 v80, v56, v37
	v_lshl_add_u32 v37, v60, 4, 0
	v_mov_b32_e32 v83, 0x120
	v_sub_nc_u16 v81, v40, v38
	v_sub_nc_u16 v82, v8, v48
	v_lshlrev_b32_sdwa v8, v85, v80 dst_sel:DWORD dst_unused:UNUSED_PAD src0_sel:DWORD src1_sel:BYTE_0
	v_lshl_add_u32 v38, v39, 4, 0
	ds_write_b128 v41, v[4:7]
	ds_write_b128 v41, v[17:20] offset:32
	ds_write_b128 v41, v[21:24] offset:64
	ds_write_b128 v37, v[9:12]
	ds_write_b128 v37, v[25:28] offset:32
	ds_write_b128 v37, v[29:32] offset:64
	;; [unrolled: 3-line block ×3, first 2 shown]
	v_lshlrev_b32_sdwa v39, v85, v81 dst_sel:DWORD dst_unused:UNUSED_PAD src0_sel:DWORD src1_sel:BYTE_0
	s_waitcnt lgkmcnt(0)
	s_barrier
	buffer_gl0_inv
	s_clause 0x1
	global_load_dwordx4 v[4:7], v8, s[8:9] offset:64
	global_load_dwordx4 v[8:11], v8, s[8:9] offset:80
	v_lshlrev_b32_sdwa v24, v85, v82 dst_sel:DWORD dst_unused:UNUSED_PAD src0_sel:DWORD src1_sel:WORD_0
	s_clause 0x3
	global_load_dwordx4 v[12:15], v39, s[8:9] offset:64
	global_load_dwordx4 v[16:19], v39, s[8:9] offset:80
	;; [unrolled: 1-line block ×4, first 2 shown]
	ds_read_b128 v[28:31], v62 offset:5280
	ds_read_b128 v[32:35], v62 offset:10560
	;; [unrolled: 1-line block ×7, first 2 shown]
	v_mov_b32_e32 v41, 4
	s_waitcnt vmcnt(5) lgkmcnt(6)
	v_mul_f64 v[60:61], v[30:31], v[6:7]
	s_waitcnt vmcnt(4) lgkmcnt(5)
	v_mul_f64 v[67:68], v[34:35], v[10:11]
	v_mul_f64 v[6:7], v[28:29], v[6:7]
	v_mul_f64 v[10:11], v[32:33], v[10:11]
	s_waitcnt vmcnt(3) lgkmcnt(4)
	v_mul_f64 v[69:70], v[38:39], v[14:15]
	s_waitcnt vmcnt(2) lgkmcnt(3)
	v_mul_f64 v[71:72], v[46:47], v[18:19]
	v_mul_f64 v[14:15], v[36:37], v[14:15]
	v_mul_f64 v[18:19], v[44:45], v[18:19]
	;; [unrolled: 6-line block ×3, first 2 shown]
	v_fma_f64 v[28:29], v[28:29], v[4:5], v[60:61]
	v_fma_f64 v[32:33], v[32:33], v[8:9], v[67:68]
	v_fma_f64 v[30:31], v[30:31], v[4:5], -v[6:7]
	v_fma_f64 v[34:35], v[34:35], v[8:9], -v[10:11]
	v_fma_f64 v[36:37], v[36:37], v[12:13], v[69:70]
	v_fma_f64 v[44:45], v[44:45], v[16:17], v[71:72]
	v_fma_f64 v[12:13], v[38:39], v[12:13], -v[14:15]
	v_fma_f64 v[14:15], v[46:47], v[16:17], -v[18:19]
	;; [unrolled: 4-line block ×3, first 2 shown]
	ds_read_b128 v[4:7], v62
	ds_read_b128 v[8:11], v62 offset:1760
	s_waitcnt lgkmcnt(0)
	s_barrier
	buffer_gl0_inv
	v_add_f64 v[24:25], v[28:29], v[32:33]
	v_add_f64 v[73:74], v[28:29], -v[32:33]
	v_add_f64 v[26:27], v[30:31], v[34:35]
	v_add_f64 v[38:39], v[36:37], v[44:45]
	v_add_f64 v[77:78], v[36:37], -v[44:45]
	v_add_f64 v[46:47], v[12:13], v[14:15]
	v_add_f64 v[75:76], v[12:13], -v[14:15]
	v_add_f64 v[48:49], v[16:17], v[18:19]
	v_add_f64 v[52:53], v[4:5], v[28:29]
	v_add_f64 v[50:51], v[20:21], v[22:23]
	v_add_f64 v[54:55], v[6:7], v[30:31]
	v_add_f64 v[30:31], v[30:31], -v[34:35]
	v_add_f64 v[60:61], v[8:9], v[36:37]
	v_add_f64 v[67:68], v[10:11], v[12:13]
	;; [unrolled: 1-line block ×4, first 2 shown]
	v_add_f64 v[20:21], v[20:21], -v[22:23]
	v_fma_f64 v[4:5], v[24:25], -0.5, v[4:5]
	v_fma_f64 v[6:7], v[26:27], -0.5, v[6:7]
	;; [unrolled: 1-line block ×5, first 2 shown]
	v_add_f64 v[63:64], v[16:17], -v[18:19]
	v_fma_f64 v[50:51], v[50:51], -0.5, v[65:66]
	v_add_f64 v[8:9], v[52:53], v[32:33]
	v_add_f64 v[10:11], v[54:55], v[34:35]
	;; [unrolled: 1-line block ×6, first 2 shown]
	v_mul_u32_u24_sdwa v65, v89, v83 dst_sel:DWORD dst_unused:UNUSED_PAD src0_sel:WORD_0 src1_sel:DWORD
	v_mul_u32_u24_sdwa v44, v57, v83 dst_sel:DWORD dst_unused:UNUSED_PAD src0_sel:WORD_0 src1_sel:DWORD
	v_mul_u32_u24_e32 v45, 0x120, v79
	v_fma_f64 v[28:29], v[30:31], s[0:1], v[4:5]
	v_fma_f64 v[32:33], v[30:31], s[4:5], v[4:5]
	;; [unrolled: 1-line block ×12, first 2 shown]
	v_lshlrev_b32_sdwa v46, v41, v80 dst_sel:DWORD dst_unused:UNUSED_PAD src0_sel:DWORD src1_sel:BYTE_0
	v_lshlrev_b32_sdwa v47, v41, v81 dst_sel:DWORD dst_unused:UNUSED_PAD src0_sel:DWORD src1_sel:BYTE_0
	v_lshlrev_b32_sdwa v48, v41, v82 dst_sel:DWORD dst_unused:UNUSED_PAD src0_sel:DWORD src1_sel:WORD_0
	v_cmp_gt_u32_e64 s0, 0x58, v56
	v_add3_u32 v46, 0, v65, v46
	v_add3_u32 v44, 0, v44, v47
	;; [unrolled: 1-line block ×3, first 2 shown]
	ds_write_b128 v46, v[8:11]
	ds_write_b128 v46, v[28:31] offset:96
	ds_write_b128 v46, v[32:35] offset:192
	ds_write_b128 v44, v[24:27]
	ds_write_b128 v44, v[36:39] offset:96
	ds_write_b128 v44, v[4:7] offset:192
	;; [unrolled: 3-line block ×3, first 2 shown]
	s_waitcnt lgkmcnt(0)
	s_barrier
	buffer_gl0_inv
	ds_read_b128 v[8:11], v62
	ds_read_b128 v[36:39], v62 offset:3168
	ds_read_b128 v[32:35], v62 offset:6336
	;; [unrolled: 1-line block ×4, first 2 shown]
	s_and_saveexec_b32 s1, s0
	s_cbranch_execz .LBB0_23
; %bb.22:
	ds_read_b128 v[4:7], v62 offset:1760
	ds_read_b128 v[12:15], v62 offset:4928
	;; [unrolled: 1-line block ×5, first 2 shown]
.LBB0_23:
	s_or_b32 exec_lo, exec_lo, s1
	v_mul_lo_u16 v42, v42, 57
	v_mov_b32_e32 v51, 6
	s_mov_b32 s12, 0x134454ff
	s_mov_b32 s13, 0xbfee6f0e
	;; [unrolled: 1-line block ×3, first 2 shown]
	v_lshrrev_b16 v55, 10, v42
	v_mul_lo_u16 v42, v43, 57
	s_mov_b32 s10, s12
	s_mov_b32 s4, 0x4755a5e
	;; [unrolled: 1-line block ×3, first 2 shown]
	v_mul_lo_u16 v43, v55, 18
	v_lshrrev_b16 v42, 10, v42
	s_mov_b32 s7, 0x3fe2cf23
	s_mov_b32 s6, s4
	v_sub_nc_u16 v57, v56, v43
	v_mul_lo_u16 v43, v42, 18
	v_lshlrev_b32_sdwa v60, v51, v57 dst_sel:DWORD dst_unused:UNUSED_PAD src0_sel:DWORD src1_sel:BYTE_0
	v_sub_nc_u16 v40, v40, v43
	v_lshlrev_b32_sdwa v41, v41, v57 dst_sel:DWORD dst_unused:UNUSED_PAD src0_sel:DWORD src1_sel:BYTE_0
	s_clause 0x1
	global_load_dwordx4 v[43:46], v60, s[8:9] offset:256
	global_load_dwordx4 v[47:50], v60, s[8:9] offset:272
	v_lshlrev_b32_sdwa v61, v51, v40 dst_sel:DWORD dst_unused:UNUSED_PAD src0_sel:DWORD src1_sel:BYTE_0
	s_clause 0x5
	global_load_dwordx4 v[51:54], v60, s[8:9] offset:288
	global_load_dwordx4 v[63:66], v60, s[8:9] offset:304
	global_load_dwordx4 v[67:70], v61, s[8:9] offset:256
	global_load_dwordx4 v[71:74], v61, s[8:9] offset:272
	global_load_dwordx4 v[75:78], v61, s[8:9] offset:288
	global_load_dwordx4 v[79:82], v61, s[8:9] offset:304
	s_waitcnt vmcnt(0) lgkmcnt(0)
	s_barrier
	buffer_gl0_inv
	v_mul_f64 v[85:86], v[30:31], v[53:54]
	v_mul_f64 v[60:61], v[38:39], v[45:46]
	;; [unrolled: 1-line block ×16, first 2 shown]
	v_fma_f64 v[28:29], v[28:29], v[51:52], v[85:86]
	v_fma_f64 v[36:37], v[36:37], v[43:44], v[60:61]
	v_fma_f64 v[38:39], v[38:39], v[43:44], -v[45:46]
	v_fma_f64 v[32:33], v[32:33], v[47:48], v[83:84]
	v_fma_f64 v[34:35], v[34:35], v[47:48], -v[49:50]
	v_fma_f64 v[30:31], v[30:31], v[51:52], -v[53:54]
	v_fma_f64 v[24:25], v[24:25], v[63:64], v[87:88]
	v_fma_f64 v[26:27], v[26:27], v[63:64], -v[65:66]
	v_fma_f64 v[12:13], v[12:13], v[67:68], v[89:90]
	;; [unrolled: 2-line block ×4, first 2 shown]
	v_fma_f64 v[43:44], v[0:1], v[79:80], v[95:96]
	v_fma_f64 v[0:1], v[22:23], v[75:76], -v[77:78]
	v_fma_f64 v[22:23], v[2:3], v[79:80], -v[81:82]
	v_add_f64 v[73:74], v[8:9], v[36:37]
	v_add_f64 v[75:76], v[10:11], v[38:39]
	;; [unrolled: 1-line block ×3, first 2 shown]
	v_add_f64 v[65:66], v[36:37], -v[32:33]
	v_add_f64 v[47:48], v[34:35], v[30:31]
	v_add_f64 v[45:46], v[36:37], v[24:25]
	;; [unrolled: 1-line block ×3, first 2 shown]
	v_add_f64 v[67:68], v[24:25], -v[28:29]
	v_add_f64 v[69:70], v[32:33], -v[36:37]
	v_add_f64 v[71:72], v[28:29], -v[24:25]
	v_add_f64 v[77:78], v[38:39], -v[34:35]
	v_add_f64 v[51:52], v[16:17], v[20:21]
	v_add_f64 v[53:54], v[12:13], v[43:44]
	;; [unrolled: 1-line block ×6, first 2 shown]
	v_add_f64 v[83:84], v[26:27], -v[30:31]
	v_add_f64 v[85:86], v[34:35], -v[38:39]
	;; [unrolled: 1-line block ×11, first 2 shown]
	v_fma_f64 v[2:3], v[2:3], -0.5, v[8:9]
	v_add_f64 v[109:110], v[16:17], -v[20:21]
	v_fma_f64 v[8:9], v[45:46], -0.5, v[8:9]
	v_add_f64 v[45:46], v[18:19], -v[0:1]
	;; [unrolled: 2-line block ×4, first 2 shown]
	v_fma_f64 v[49:50], v[51:52], -0.5, v[4:5]
	v_fma_f64 v[4:5], v[53:54], -0.5, v[4:5]
	;; [unrolled: 1-line block ×4, first 2 shown]
	v_add_f64 v[91:92], v[43:44], -v[20:21]
	v_add_f64 v[95:96], v[20:21], -v[43:44]
	;; [unrolled: 1-line block ×4, first 2 shown]
	v_add_f64 v[53:54], v[65:66], v[67:68]
	v_add_f64 v[60:61], v[69:70], v[71:72]
	;; [unrolled: 1-line block ×8, first 2 shown]
	v_fma_f64 v[71:72], v[38:39], s[12:13], v[2:3]
	v_fma_f64 v[2:3], v[38:39], s[10:11], v[2:3]
	;; [unrolled: 1-line block ×16, first 2 shown]
	v_add_f64 v[67:68], v[89:90], v[91:92]
	v_add_f64 v[69:70], v[93:94], v[95:96]
	;; [unrolled: 1-line block ×8, first 2 shown]
	v_fma_f64 v[20:21], v[107:108], s[4:5], v[71:72]
	v_fma_f64 v[32:33], v[107:108], s[6:7], v[2:3]
	;; [unrolled: 1-line block ×16, first 2 shown]
	s_mov_b32 s4, 0x372fe950
	s_mov_b32 s5, 0x3fd3c6ef
	v_add_f64 v[0:1], v[28:29], v[24:25]
	v_add_f64 v[2:3], v[30:31], v[26:27]
	;; [unrolled: 1-line block ×4, first 2 shown]
	v_fma_f64 v[12:13], v[53:54], s[4:5], v[20:21]
	v_fma_f64 v[20:21], v[53:54], s[4:5], v[32:33]
	;; [unrolled: 1-line block ×16, first 2 shown]
	v_mov_b32_e32 v43, 0x5a0
	v_mul_u32_u24_sdwa v44, v55, v43 dst_sel:DWORD dst_unused:UNUSED_PAD src0_sel:WORD_0 src1_sel:DWORD
	v_add3_u32 v41, 0, v44, v41
	ds_write_b128 v41, v[0:3]
	ds_write_b128 v41, v[12:15] offset:288
	ds_write_b128 v41, v[4:7] offset:576
	;; [unrolled: 1-line block ×4, first 2 shown]
	s_and_saveexec_b32 s1, s0
	s_cbranch_execz .LBB0_25
; %bb.24:
	v_mov_b32_e32 v41, 4
	v_mul_u32_u24_sdwa v42, v42, v43 dst_sel:DWORD dst_unused:UNUSED_PAD src0_sel:WORD_0 src1_sel:DWORD
	v_lshlrev_b32_sdwa v40, v41, v40 dst_sel:DWORD dst_unused:UNUSED_PAD src0_sel:DWORD src1_sel:BYTE_0
	v_add3_u32 v40, 0, v42, v40
	ds_write_b128 v40, v[24:27]
	ds_write_b128 v40, v[28:31] offset:288
	ds_write_b128 v40, v[32:35] offset:576
	;; [unrolled: 1-line block ×4, first 2 shown]
.LBB0_25:
	s_or_b32 exec_lo, exec_lo, s1
	v_cmp_gt_u32_e64 s0, 0x5a, v56
	s_waitcnt lgkmcnt(0)
	s_barrier
	buffer_gl0_inv
                                        ; implicit-def: $vgpr42_vgpr43
	s_and_saveexec_b32 s1, s0
	s_cbranch_execz .LBB0_27
; %bb.26:
	ds_read_b128 v[0:3], v62
	ds_read_b128 v[12:15], v62 offset:1440
	ds_read_b128 v[4:7], v62 offset:2880
	;; [unrolled: 1-line block ×10, first 2 shown]
.LBB0_27:
	s_or_b32 exec_lo, exec_lo, s1
	s_waitcnt lgkmcnt(0)
	s_barrier
	buffer_gl0_inv
	s_and_saveexec_b32 s28, s0
	s_cbranch_execz .LBB0_29
; %bb.28:
	v_add_nc_u32_e32 v44, 0xffffffa6, v56
	v_mov_b32_e32 v45, 0
	s_mov_b32 s6, 0xbb3a28a1
	s_mov_b32 s10, 0xfd768dbf
	;; [unrolled: 1-line block ×3, first 2 shown]
	v_cndmask_b32_e64 v44, v44, v56, s0
	s_mov_b32 s11, 0xbfd207e7
	s_mov_b32 s13, 0xbfe14ced
	;; [unrolled: 1-line block ×4, first 2 shown]
	v_mul_i32_i24_e32 v44, 10, v44
	s_mov_b32 s18, 0x7f775887
	s_mov_b32 s22, 0x8764f0ba
	;; [unrolled: 1-line block ×4, first 2 shown]
	v_lshlrev_b64 v[44:45], 4, v[44:45]
	s_mov_b32 s19, 0xbfe4f49e
	s_mov_b32 s23, 0x3feaeb8c
	;; [unrolled: 1-line block ×5, first 2 shown]
	v_add_co_u32 v48, s0, s8, v44
	v_add_co_ci_u32_e64 v49, s0, s9, v45, s0
	s_mov_b32 s8, 0xf8bb580b
	s_mov_b32 s0, 0x43842ef
	;; [unrolled: 1-line block ×3, first 2 shown]
	s_clause 0x9
	global_load_dwordx4 v[63:66], v[48:49], off offset:1472
	global_load_dwordx4 v[67:70], v[48:49], off offset:1456
	;; [unrolled: 1-line block ×10, first 2 shown]
	s_mov_b32 s12, s8
	s_mov_b32 s1, 0xbfefac9e
	;; [unrolled: 1-line block ×7, first 2 shown]
	s_waitcnt vmcnt(9)
	v_mul_f64 v[60:61], v[26:27], v[65:66]
	s_waitcnt vmcnt(8)
	v_mul_f64 v[91:92], v[22:23], v[69:70]
	v_mul_f64 v[69:70], v[20:21], v[69:70]
	s_waitcnt vmcnt(7)
	v_mul_f64 v[93:94], v[34:35], v[73:74]
	s_waitcnt vmcnt(6)
	v_mul_f64 v[95:96], v[14:15], v[54:55]
	s_waitcnt vmcnt(5)
	v_mul_f64 v[97:98], v[42:43], v[77:78]
	v_mul_f64 v[73:74], v[32:33], v[73:74]
	;; [unrolled: 1-line block ×5, first 2 shown]
	s_waitcnt vmcnt(4)
	v_mul_f64 v[99:100], v[30:31], v[81:82]
	v_mul_f64 v[81:82], v[28:29], v[81:82]
	s_waitcnt vmcnt(3)
	v_mul_f64 v[101:102], v[18:19], v[85:86]
	s_waitcnt vmcnt(2)
	v_mul_f64 v[103:104], v[38:39], v[89:90]
	v_mul_f64 v[85:86], v[16:17], v[85:86]
	;; [unrolled: 1-line block ×3, first 2 shown]
	s_waitcnt vmcnt(1)
	v_mul_f64 v[107:108], v[6:7], v[46:47]
	v_mul_f64 v[109:110], v[4:5], v[46:47]
	s_waitcnt vmcnt(0)
	v_mul_f64 v[111:112], v[10:11], v[50:51]
	v_mul_f64 v[113:114], v[8:9], v[50:51]
	v_fma_f64 v[46:47], v[24:25], v[63:64], v[60:61]
	v_fma_f64 v[54:55], v[20:21], v[67:68], v[91:92]
	v_fma_f64 v[60:61], v[22:23], v[67:68], -v[69:70]
	v_fma_f64 v[20:21], v[32:33], v[71:72], v[93:94]
	v_fma_f64 v[32:33], v[12:13], v[52:53], v[95:96]
	;; [unrolled: 1-line block ×3, first 2 shown]
	v_fma_f64 v[22:23], v[34:35], v[71:72], -v[73:74]
	v_fma_f64 v[34:35], v[14:15], v[52:53], -v[105:106]
	;; [unrolled: 1-line block ×4, first 2 shown]
	v_fma_f64 v[24:25], v[28:29], v[79:80], v[99:100]
	v_fma_f64 v[26:27], v[30:31], v[79:80], -v[81:82]
	v_fma_f64 v[28:29], v[16:17], v[83:84], v[101:102]
	v_fma_f64 v[16:17], v[36:37], v[87:88], v[103:104]
	v_fma_f64 v[30:31], v[18:19], v[83:84], -v[85:86]
	v_fma_f64 v[18:19], v[38:39], v[87:88], -v[89:90]
	v_fma_f64 v[4:5], v[4:5], v[44:45], v[107:108]
	v_fma_f64 v[6:7], v[6:7], v[44:45], -v[109:110]
	v_fma_f64 v[8:9], v[8:9], v[48:49], v[111:112]
	v_fma_f64 v[10:11], v[10:11], v[48:49], -v[113:114]
	v_add_f64 v[36:37], v[54:55], -v[20:21]
	v_add_f64 v[77:78], v[54:55], v[20:21]
	v_add_f64 v[38:39], v[32:33], -v[12:13]
	v_add_f64 v[67:68], v[32:33], v[12:13]
	v_add_f64 v[32:33], v[0:1], v[32:33]
	v_add_f64 v[63:64], v[34:35], -v[14:15]
	v_add_f64 v[65:66], v[34:35], v[14:15]
	v_add_f64 v[34:35], v[2:3], v[34:35]
	v_add_f64 v[40:41], v[60:61], -v[22:23]
	v_add_f64 v[42:43], v[46:47], -v[24:25]
	;; [unrolled: 1-line block ×5, first 2 shown]
	v_add_f64 v[69:70], v[50:51], v[26:27]
	v_add_f64 v[71:72], v[60:61], v[22:23]
	v_add_f64 v[81:82], v[4:5], -v[8:9]
	v_add_f64 v[83:84], v[6:7], v[10:11]
	v_add_f64 v[85:86], v[6:7], -v[10:11]
	v_add_f64 v[87:88], v[4:5], v[8:9]
	v_add_f64 v[73:74], v[30:31], v[18:19]
	;; [unrolled: 1-line block ×4, first 2 shown]
	v_mul_f64 v[89:90], v[36:37], s[4:5]
	v_mul_f64 v[123:124], v[36:37], s[10:11]
	;; [unrolled: 1-line block ×4, first 2 shown]
	v_add_f64 v[4:5], v[32:33], v[4:5]
	v_mul_f64 v[107:108], v[38:39], s[12:13]
	v_mul_f64 v[109:110], v[63:64], s[10:11]
	v_add_f64 v[6:7], v[34:35], v[6:7]
	v_mul_f64 v[111:112], v[63:64], s[6:7]
	v_mul_f64 v[115:116], v[63:64], s[12:13]
	;; [unrolled: 1-line block ×9, first 2 shown]
	s_mov_b32 s5, 0xbfed1bb4
	v_mul_f64 v[117:118], v[42:43], s[0:1]
	v_mul_f64 v[38:39], v[38:39], s[4:5]
	;; [unrolled: 1-line block ×8, first 2 shown]
	v_add_f64 v[4:5], v[4:5], v[28:29]
	v_mul_f64 v[36:37], v[36:37], s[6:7]
	v_mul_f64 v[129:130], v[48:49], s[6:7]
	v_add_f64 v[6:7], v[6:7], v[30:31]
	v_mul_f64 v[131:132], v[48:49], s[12:13]
	v_mul_f64 v[133:134], v[48:49], s[26:27]
	;; [unrolled: 1-line block ×18, first 2 shown]
	v_add_f64 v[4:5], v[4:5], v[54:55]
	v_mul_f64 v[155:156], v[81:82], s[6:7]
	v_mul_f64 v[157:158], v[85:86], s[8:9]
	v_add_f64 v[6:7], v[6:7], v[60:61]
	v_mul_f64 v[159:160], v[85:86], s[24:25]
	v_mul_f64 v[161:162], v[85:86], s[26:27]
	;; [unrolled: 1-line block ×5, first 2 shown]
	v_fma_f64 v[165:166], v[65:66], s[20:21], v[91:92]
	v_fma_f64 v[91:92], v[65:66], s[20:21], -v[91:92]
	v_fma_f64 v[167:168], v[65:66], s[18:19], v[97:98]
	v_fma_f64 v[97:98], v[65:66], s[18:19], -v[97:98]
	;; [unrolled: 2-line block ×3, first 2 shown]
	v_fma_f64 v[173:174], v[67:68], s[20:21], -v[109:110]
	v_fma_f64 v[175:176], v[67:68], s[18:19], -v[111:112]
	v_fma_f64 v[111:112], v[67:68], s[18:19], v[111:112]
	v_fma_f64 v[179:180], v[67:68], s[22:23], -v[115:116]
	v_fma_f64 v[115:116], v[67:68], s[22:23], v[115:116]
	v_fma_f64 v[169:170], v[65:66], s[14:15], v[103:104]
	v_fma_f64 v[103:104], v[65:66], s[14:15], -v[103:104]
	v_fma_f64 v[109:110], v[67:68], s[20:21], v[109:110]
	v_fma_f64 v[177:178], v[67:68], s[14:15], -v[113:114]
	v_fma_f64 v[113:114], v[67:68], s[14:15], v[113:114]
	v_fma_f64 v[237:238], v[65:66], s[16:17], v[38:39]
	v_fma_f64 v[38:39], v[65:66], s[16:17], -v[38:39]
	v_fma_f64 v[65:66], v[67:68], s[16:17], -v[63:64]
	v_fma_f64 v[63:64], v[67:68], s[16:17], v[63:64]
	v_add_f64 v[6:7], v[6:7], v[50:51]
	v_add_f64 v[4:5], v[4:5], v[46:47]
	v_fma_f64 v[181:182], v[69:70], s[14:15], v[117:118]
	v_fma_f64 v[117:118], v[69:70], s[14:15], -v[117:118]
	v_fma_f64 v[183:184], v[69:70], s[16:17], v[95:96]
	v_fma_f64 v[95:96], v[69:70], s[16:17], -v[95:96]
	;; [unrolled: 2-line block ×15, first 2 shown]
	v_fma_f64 v[73:74], v[75:76], s[14:15], -v[135:136]
	v_fma_f64 v[135:136], v[75:76], s[14:15], v[135:136]
	v_fma_f64 v[207:208], v[75:76], s[16:17], -v[99:100]
	v_fma_f64 v[99:100], v[75:76], s[16:17], v[99:100]
	;; [unrolled: 2-line block ×15, first 2 shown]
	v_fma_f64 v[79:80], v[83:84], s[22:23], v[149:150]
	v_fma_f64 v[149:150], v[83:84], s[22:23], -v[149:150]
	v_fma_f64 v[227:228], v[83:84], s[14:15], v[151:152]
	v_fma_f64 v[54:55], v[83:84], s[14:15], -v[151:152]
	;; [unrolled: 2-line block ×4, first 2 shown]
	v_fma_f64 v[229:230], v[87:88], s[22:23], -v[157:158]
	v_fma_f64 v[157:158], v[87:88], s[22:23], v[157:158]
	v_fma_f64 v[231:232], v[87:88], s[14:15], -v[159:160]
	v_fma_f64 v[159:160], v[87:88], s[14:15], v[159:160]
	;; [unrolled: 2-line block ×4, first 2 shown]
	v_fma_f64 v[67:68], v[83:84], s[16:17], v[81:82]
	v_fma_f64 v[81:82], v[83:84], s[16:17], -v[81:82]
	v_fma_f64 v[83:84], v[87:88], s[16:17], v[85:86]
	v_fma_f64 v[46:47], v[87:88], s[16:17], -v[85:86]
	v_add_f64 v[50:51], v[2:3], v[165:166]
	v_add_f64 v[85:86], v[0:1], v[173:174]
	;; [unrolled: 1-line block ×110, first 2 shown]
	ds_write_b128 v62, v[28:31] offset:1440
	ds_write_b128 v62, v[24:27] offset:4320
	ds_write_b128 v62, v[16:19] offset:5760
	ds_write_b128 v62, v[4:7] offset:7200
	ds_write_b128 v62, v[0:3] offset:8640
	ds_write_b128 v62, v[8:11] offset:10080
	ds_write_b128 v62, v[20:23] offset:11520
	ds_write_b128 v62, v[40:43] offset:2880
	ds_write_b128 v62, v[36:39] offset:12960
	ds_write_b128 v62, v[12:15]
	ds_write_b128 v62, v[32:35] offset:14400
.LBB0_29:
	s_or_b32 exec_lo, exec_lo, s28
	s_waitcnt lgkmcnt(0)
	s_barrier
	buffer_gl0_inv
	s_and_saveexec_b32 s0, vcc_lo
	s_cbranch_execz .LBB0_31
; %bb.30:
	v_mov_b32_e32 v57, 0
	v_add_co_u32 v30, vcc_lo, s2, v58
	v_lshl_add_u32 v28, v56, 4, 0
	v_add_co_ci_u32_e32 v31, vcc_lo, s3, v59, vcc_lo
	v_lshlrev_b64 v[0:1], 4, v[56:57]
	v_add_nc_u32_e32 v8, 0x6e, v56
	v_mov_b32_e32 v9, v57
	v_add_nc_u32_e32 v10, 0xdc, v56
	v_mov_b32_e32 v11, v57
	v_add_nc_u32_e32 v22, 0x14a, v56
	v_add_co_u32 v16, vcc_lo, v30, v0
	v_add_co_ci_u32_e32 v17, vcc_lo, v31, v1, vcc_lo
	ds_read_b128 v[0:3], v28
	ds_read_b128 v[4:7], v28 offset:1760
	v_lshlrev_b64 v[18:19], 4, v[8:9]
	v_lshlrev_b64 v[20:21], 4, v[10:11]
	ds_read_b128 v[8:11], v28 offset:3520
	ds_read_b128 v[12:15], v28 offset:5280
	v_mov_b32_e32 v23, v57
	v_add_nc_u32_e32 v24, 0x1b8, v56
	v_mov_b32_e32 v25, v57
	v_add_co_u32 v18, vcc_lo, v30, v18
	v_lshlrev_b64 v[22:23], 4, v[22:23]
	v_add_co_ci_u32_e32 v19, vcc_lo, v31, v19, vcc_lo
	v_add_co_u32 v20, vcc_lo, v30, v20
	v_add_co_ci_u32_e32 v21, vcc_lo, v31, v21, vcc_lo
	v_add_co_u32 v22, vcc_lo, v30, v22
	s_waitcnt lgkmcnt(3)
	global_store_dwordx4 v[16:17], v[0:3], off
	s_waitcnt lgkmcnt(2)
	global_store_dwordx4 v[18:19], v[4:7], off
	v_add_nc_u32_e32 v2, 0x226, v56
	v_mov_b32_e32 v3, v57
	v_add_co_ci_u32_e32 v23, vcc_lo, v31, v23, vcc_lo
	v_lshlrev_b64 v[0:1], 4, v[24:25]
	s_waitcnt lgkmcnt(1)
	global_store_dwordx4 v[20:21], v[8:11], off
	s_waitcnt lgkmcnt(0)
	global_store_dwordx4 v[22:23], v[12:15], off
	v_lshlrev_b64 v[8:9], 4, v[2:3]
	v_add_nc_u32_e32 v10, 0x294, v56
	v_mov_b32_e32 v11, v57
	v_add_co_u32 v20, vcc_lo, v30, v0
	v_add_co_ci_u32_e32 v21, vcc_lo, v31, v1, vcc_lo
	v_add_co_u32 v22, vcc_lo, v30, v8
	ds_read_b128 v[0:3], v28 offset:7040
	ds_read_b128 v[4:7], v28 offset:8800
	v_add_co_ci_u32_e32 v23, vcc_lo, v31, v9, vcc_lo
	v_lshlrev_b64 v[26:27], 4, v[10:11]
	ds_read_b128 v[8:11], v28 offset:10560
	ds_read_b128 v[12:15], v28 offset:12320
	;; [unrolled: 1-line block ×3, first 2 shown]
	v_add_nc_u32_e32 v24, 0x302, v56
	v_add_nc_u32_e32 v56, 0x370, v56
	v_add_co_u32 v26, vcc_lo, v30, v26
	v_lshlrev_b64 v[24:25], 4, v[24:25]
	v_lshlrev_b64 v[28:29], 4, v[56:57]
	v_add_co_ci_u32_e32 v27, vcc_lo, v31, v27, vcc_lo
	v_add_co_u32 v24, vcc_lo, v30, v24
	v_add_co_ci_u32_e32 v25, vcc_lo, v31, v25, vcc_lo
	v_add_co_u32 v28, vcc_lo, v30, v28
	v_add_co_ci_u32_e32 v29, vcc_lo, v31, v29, vcc_lo
	s_waitcnt lgkmcnt(4)
	global_store_dwordx4 v[20:21], v[0:3], off
	s_waitcnt lgkmcnt(3)
	global_store_dwordx4 v[22:23], v[4:7], off
	s_waitcnt lgkmcnt(2)
	global_store_dwordx4 v[26:27], v[8:11], off
	s_waitcnt lgkmcnt(1)
	global_store_dwordx4 v[24:25], v[12:15], off
	s_waitcnt lgkmcnt(0)
	global_store_dwordx4 v[28:29], v[16:19], off
.LBB0_31:
	s_endpgm
	.section	.rodata,"a",@progbits
	.p2align	6, 0x0
	.amdhsa_kernel fft_rtc_back_len990_factors_2_3_3_5_11_wgs_110_tpt_110_dp_ip_CI_unitstride_sbrr_C2R_dirReg
		.amdhsa_group_segment_fixed_size 0
		.amdhsa_private_segment_fixed_size 0
		.amdhsa_kernarg_size 88
		.amdhsa_user_sgpr_count 6
		.amdhsa_user_sgpr_private_segment_buffer 1
		.amdhsa_user_sgpr_dispatch_ptr 0
		.amdhsa_user_sgpr_queue_ptr 0
		.amdhsa_user_sgpr_kernarg_segment_ptr 1
		.amdhsa_user_sgpr_dispatch_id 0
		.amdhsa_user_sgpr_flat_scratch_init 0
		.amdhsa_user_sgpr_private_segment_size 0
		.amdhsa_wavefront_size32 1
		.amdhsa_uses_dynamic_stack 0
		.amdhsa_system_sgpr_private_segment_wavefront_offset 0
		.amdhsa_system_sgpr_workgroup_id_x 1
		.amdhsa_system_sgpr_workgroup_id_y 0
		.amdhsa_system_sgpr_workgroup_id_z 0
		.amdhsa_system_sgpr_workgroup_info 0
		.amdhsa_system_vgpr_workitem_id 0
		.amdhsa_next_free_vgpr 239
		.amdhsa_next_free_sgpr 29
		.amdhsa_reserve_vcc 1
		.amdhsa_reserve_flat_scratch 0
		.amdhsa_float_round_mode_32 0
		.amdhsa_float_round_mode_16_64 0
		.amdhsa_float_denorm_mode_32 3
		.amdhsa_float_denorm_mode_16_64 3
		.amdhsa_dx10_clamp 1
		.amdhsa_ieee_mode 1
		.amdhsa_fp16_overflow 0
		.amdhsa_workgroup_processor_mode 1
		.amdhsa_memory_ordered 1
		.amdhsa_forward_progress 0
		.amdhsa_shared_vgpr_count 0
		.amdhsa_exception_fp_ieee_invalid_op 0
		.amdhsa_exception_fp_denorm_src 0
		.amdhsa_exception_fp_ieee_div_zero 0
		.amdhsa_exception_fp_ieee_overflow 0
		.amdhsa_exception_fp_ieee_underflow 0
		.amdhsa_exception_fp_ieee_inexact 0
		.amdhsa_exception_int_div_zero 0
	.end_amdhsa_kernel
	.text
.Lfunc_end0:
	.size	fft_rtc_back_len990_factors_2_3_3_5_11_wgs_110_tpt_110_dp_ip_CI_unitstride_sbrr_C2R_dirReg, .Lfunc_end0-fft_rtc_back_len990_factors_2_3_3_5_11_wgs_110_tpt_110_dp_ip_CI_unitstride_sbrr_C2R_dirReg
                                        ; -- End function
	.section	.AMDGPU.csdata,"",@progbits
; Kernel info:
; codeLenInByte = 10304
; NumSgprs: 31
; NumVgprs: 239
; ScratchSize: 0
; MemoryBound: 0
; FloatMode: 240
; IeeeMode: 1
; LDSByteSize: 0 bytes/workgroup (compile time only)
; SGPRBlocks: 3
; VGPRBlocks: 29
; NumSGPRsForWavesPerEU: 31
; NumVGPRsForWavesPerEU: 239
; Occupancy: 4
; WaveLimiterHint : 1
; COMPUTE_PGM_RSRC2:SCRATCH_EN: 0
; COMPUTE_PGM_RSRC2:USER_SGPR: 6
; COMPUTE_PGM_RSRC2:TRAP_HANDLER: 0
; COMPUTE_PGM_RSRC2:TGID_X_EN: 1
; COMPUTE_PGM_RSRC2:TGID_Y_EN: 0
; COMPUTE_PGM_RSRC2:TGID_Z_EN: 0
; COMPUTE_PGM_RSRC2:TIDIG_COMP_CNT: 0
	.text
	.p2alignl 6, 3214868480
	.fill 48, 4, 3214868480
	.type	__hip_cuid_417a494d8e6d2a4b,@object ; @__hip_cuid_417a494d8e6d2a4b
	.section	.bss,"aw",@nobits
	.globl	__hip_cuid_417a494d8e6d2a4b
__hip_cuid_417a494d8e6d2a4b:
	.byte	0                               ; 0x0
	.size	__hip_cuid_417a494d8e6d2a4b, 1

	.ident	"AMD clang version 19.0.0git (https://github.com/RadeonOpenCompute/llvm-project roc-6.4.0 25133 c7fe45cf4b819c5991fe208aaa96edf142730f1d)"
	.section	".note.GNU-stack","",@progbits
	.addrsig
	.addrsig_sym __hip_cuid_417a494d8e6d2a4b
	.amdgpu_metadata
---
amdhsa.kernels:
  - .args:
      - .actual_access:  read_only
        .address_space:  global
        .offset:         0
        .size:           8
        .value_kind:     global_buffer
      - .offset:         8
        .size:           8
        .value_kind:     by_value
      - .actual_access:  read_only
        .address_space:  global
        .offset:         16
        .size:           8
        .value_kind:     global_buffer
      - .actual_access:  read_only
        .address_space:  global
        .offset:         24
        .size:           8
        .value_kind:     global_buffer
      - .offset:         32
        .size:           8
        .value_kind:     by_value
      - .actual_access:  read_only
        .address_space:  global
        .offset:         40
        .size:           8
        .value_kind:     global_buffer
      - .actual_access:  read_only
        .address_space:  global
        .offset:         48
        .size:           8
        .value_kind:     global_buffer
      - .offset:         56
        .size:           4
        .value_kind:     by_value
      - .actual_access:  read_only
        .address_space:  global
        .offset:         64
        .size:           8
        .value_kind:     global_buffer
      - .actual_access:  read_only
        .address_space:  global
        .offset:         72
        .size:           8
        .value_kind:     global_buffer
      - .address_space:  global
        .offset:         80
        .size:           8
        .value_kind:     global_buffer
    .group_segment_fixed_size: 0
    .kernarg_segment_align: 8
    .kernarg_segment_size: 88
    .language:       OpenCL C
    .language_version:
      - 2
      - 0
    .max_flat_workgroup_size: 110
    .name:           fft_rtc_back_len990_factors_2_3_3_5_11_wgs_110_tpt_110_dp_ip_CI_unitstride_sbrr_C2R_dirReg
    .private_segment_fixed_size: 0
    .sgpr_count:     31
    .sgpr_spill_count: 0
    .symbol:         fft_rtc_back_len990_factors_2_3_3_5_11_wgs_110_tpt_110_dp_ip_CI_unitstride_sbrr_C2R_dirReg.kd
    .uniform_work_group_size: 1
    .uses_dynamic_stack: false
    .vgpr_count:     239
    .vgpr_spill_count: 0
    .wavefront_size: 32
    .workgroup_processor_mode: 1
amdhsa.target:   amdgcn-amd-amdhsa--gfx1030
amdhsa.version:
  - 1
  - 2
...

	.end_amdgpu_metadata
